;; amdgpu-corpus repo=ROCm/rocFFT kind=compiled arch=gfx906 opt=O3
	.text
	.amdgcn_target "amdgcn-amd-amdhsa--gfx906"
	.amdhsa_code_object_version 6
	.protected	fft_rtc_back_len160_factors_2_8_10_wgs_200_tpt_10_dim3_sp_ip_CI_sbcc_twdbase8_3step_dirReg_intrinsicReadWrite ; -- Begin function fft_rtc_back_len160_factors_2_8_10_wgs_200_tpt_10_dim3_sp_ip_CI_sbcc_twdbase8_3step_dirReg_intrinsicReadWrite
	.globl	fft_rtc_back_len160_factors_2_8_10_wgs_200_tpt_10_dim3_sp_ip_CI_sbcc_twdbase8_3step_dirReg_intrinsicReadWrite
	.p2align	8
	.type	fft_rtc_back_len160_factors_2_8_10_wgs_200_tpt_10_dim3_sp_ip_CI_sbcc_twdbase8_3step_dirReg_intrinsicReadWrite,@function
fft_rtc_back_len160_factors_2_8_10_wgs_200_tpt_10_dim3_sp_ip_CI_sbcc_twdbase8_3step_dirReg_intrinsicReadWrite: ; @fft_rtc_back_len160_factors_2_8_10_wgs_200_tpt_10_dim3_sp_ip_CI_sbcc_twdbase8_3step_dirReg_intrinsicReadWrite
; %bb.0:
	s_load_dwordx4 s[0:3], s[4:5], 0x10
	s_mov_b32 s7, 0
	s_mov_b64 s[20:21], 0
	s_waitcnt lgkmcnt(0)
	s_load_dwordx2 s[10:11], s[0:1], 0x8
	s_waitcnt lgkmcnt(0)
	s_add_u32 s8, s10, -1
	s_addc_u32 s9, s11, -1
	s_add_u32 s12, 0, 0xcccc3000
	s_addc_u32 s13, 0, 44
	s_mul_hi_u32 s15, s12, 0xffffffec
	s_add_i32 s13, s13, 0xccccca0
	s_sub_i32 s15, s15, s12
	s_mul_i32 s18, s13, 0xffffffec
	s_mul_i32 s14, s12, 0xffffffec
	s_add_i32 s15, s15, s18
	s_mul_hi_u32 s16, s13, s14
	s_mul_i32 s17, s13, s14
	s_mul_i32 s19, s12, s15
	s_mul_hi_u32 s14, s12, s14
	s_mul_hi_u32 s18, s12, s15
	s_add_u32 s14, s14, s19
	s_addc_u32 s18, 0, s18
	s_add_u32 s14, s14, s17
	s_mul_hi_u32 s19, s13, s15
	s_addc_u32 s14, s18, s16
	s_addc_u32 s16, s19, 0
	s_mul_i32 s15, s13, s15
	s_add_u32 s14, s14, s15
	v_mov_b32_e32 v1, s14
	s_addc_u32 s15, 0, s16
	v_add_co_u32_e32 v1, vcc, s12, v1
	s_cmp_lg_u64 vcc, 0
	s_addc_u32 s12, s13, s15
	v_readfirstlane_b32 s15, v1
	s_mul_i32 s14, s8, s12
	s_mul_hi_u32 s16, s8, s15
	s_mul_hi_u32 s13, s8, s12
	s_add_u32 s14, s16, s14
	s_addc_u32 s13, 0, s13
	s_mul_hi_u32 s17, s9, s15
	s_mul_i32 s15, s9, s15
	s_add_u32 s14, s14, s15
	s_mul_hi_u32 s16, s9, s12
	s_addc_u32 s13, s13, s17
	s_addc_u32 s14, s16, 0
	s_mul_i32 s12, s9, s12
	s_add_u32 s12, s13, s12
	s_addc_u32 s13, 0, s14
	s_add_u32 s14, s12, 1
	s_addc_u32 s15, s13, 0
	s_add_u32 s16, s12, 2
	s_mul_i32 s18, s13, 20
	s_mul_hi_u32 s19, s12, 20
	s_addc_u32 s17, s13, 0
	s_add_i32 s19, s19, s18
	s_mul_i32 s18, s12, 20
	v_mov_b32_e32 v1, s18
	v_sub_co_u32_e32 v1, vcc, s8, v1
	s_cmp_lg_u64 vcc, 0
	s_subb_u32 s8, s9, s19
	v_subrev_co_u32_e32 v2, vcc, 20, v1
	s_cmp_lg_u64 vcc, 0
	s_subb_u32 s9, s8, 0
	v_readfirstlane_b32 s18, v2
	s_cmp_gt_u32 s18, 19
	s_cselect_b32 s18, -1, 0
	s_cmp_eq_u32 s9, 0
	s_cselect_b32 s9, s18, -1
	s_cmp_lg_u32 s9, 0
	s_cselect_b32 s9, s16, s14
	s_cselect_b32 s14, s17, s15
	v_readfirstlane_b32 s15, v1
	s_cmp_gt_u32 s15, 19
	s_cselect_b32 s15, -1, 0
	s_cmp_eq_u32 s8, 0
	s_cselect_b32 s8, s15, -1
	s_cmp_lg_u32 s8, 0
	s_cselect_b32 s9, s9, s12
	s_cselect_b32 s8, s14, s13
	s_add_u32 s18, s9, 1
	s_addc_u32 s19, s8, 0
	v_mov_b32_e32 v1, s18
	v_mov_b32_e32 v2, s19
	v_cmp_lt_u64_e32 vcc, s[6:7], v[1:2]
	s_cbranch_vccnz .LBB0_2
; %bb.1:
	v_cvt_f32_u32_e32 v1, s18
	s_sub_i32 s8, 0, s18
	s_mov_b32 s21, s7
	v_rcp_iflag_f32_e32 v1, v1
	v_mul_f32_e32 v1, 0x4f7ffffe, v1
	v_cvt_u32_f32_e32 v1, v1
	v_readfirstlane_b32 s9, v1
	s_mul_i32 s8, s8, s9
	s_mul_hi_u32 s8, s9, s8
	s_add_i32 s9, s9, s8
	s_mul_hi_u32 s8, s6, s9
	s_mul_i32 s12, s8, s18
	s_sub_i32 s12, s6, s12
	s_add_i32 s9, s8, 1
	s_sub_i32 s13, s12, s18
	s_cmp_ge_u32 s12, s18
	s_cselect_b32 s8, s9, s8
	s_cselect_b32 s12, s13, s12
	s_add_i32 s9, s8, 1
	s_cmp_ge_u32 s12, s18
	s_cselect_b32 s20, s9, s8
.LBB0_2:
	s_load_dwordx2 s[22:23], s[0:1], 0x10
	s_load_dwordx2 s[8:9], s[4:5], 0x50
	;; [unrolled: 1-line block ×3, first 2 shown]
	s_load_dwordx4 s[12:15], s[2:3], 0x0
	s_mov_b64 s[0:1], s[20:21]
	s_waitcnt lgkmcnt(0)
	v_mov_b32_e32 v1, s22
	v_mov_b32_e32 v2, s23
	v_cmp_lt_u64_e32 vcc, s[20:21], v[1:2]
	s_cbranch_vccnz .LBB0_4
; %bb.3:
	v_cvt_f32_u32_e32 v1, s22
	s_sub_i32 s0, 0, s22
	v_rcp_iflag_f32_e32 v1, v1
	v_mul_f32_e32 v1, 0x4f7ffffe, v1
	v_cvt_u32_f32_e32 v1, v1
	v_readfirstlane_b32 s1, v1
	s_mul_i32 s0, s0, s1
	s_mul_hi_u32 s0, s1, s0
	s_add_i32 s1, s1, s0
	s_mul_hi_u32 s0, s20, s1
	s_mul_i32 s0, s0, s22
	s_sub_i32 s0, s20, s0
	s_sub_i32 s1, s0, s22
	s_cmp_ge_u32 s0, s22
	s_cselect_b32 s0, s1, s0
	s_sub_i32 s1, s0, s22
	s_cmp_ge_u32 s0, s22
	s_cselect_b32 s0, s1, s0
.LBB0_4:
	s_mul_i32 s1, s22, s19
	s_mul_hi_u32 s13, s22, s18
	s_add_i32 s1, s13, s1
	s_mul_i32 s13, s23, s18
	s_mul_i32 s24, s22, s18
	s_add_i32 s25, s1, s13
	s_load_dwordx2 s[22:23], s[2:3], 0x10
	v_mov_b32_e32 v1, s24
	v_mov_b32_e32 v2, s25
	v_cmp_lt_u64_e32 vcc, s[6:7], v[1:2]
	s_mov_b64 s[26:27], 0
	s_cbranch_vccnz .LBB0_6
; %bb.5:
	v_cvt_f32_u32_e32 v1, s24
	s_sub_i32 s1, 0, s24
	v_rcp_iflag_f32_e32 v1, v1
	v_mul_f32_e32 v1, 0x4f7ffffe, v1
	v_cvt_u32_f32_e32 v1, v1
	v_readfirstlane_b32 s7, v1
	s_mul_i32 s1, s1, s7
	s_mul_hi_u32 s1, s7, s1
	s_add_i32 s7, s7, s1
	s_mul_hi_u32 s1, s6, s7
	s_mul_i32 s13, s1, s24
	s_sub_i32 s13, s6, s13
	s_add_i32 s7, s1, 1
	s_sub_i32 s15, s13, s24
	s_cmp_ge_u32 s13, s24
	s_cselect_b32 s1, s7, s1
	s_cselect_b32 s13, s15, s13
	s_add_i32 s7, s1, 1
	s_cmp_ge_u32 s13, s24
	s_cselect_b32 s26, s7, s1
.LBB0_6:
	s_mul_i32 s1, s20, s19
	s_mul_hi_u32 s7, s20, s18
	s_load_dword s2, s[2:3], 0x18
	s_add_i32 s7, s7, s1
	s_mul_i32 s1, s20, s18
	s_sub_u32 s1, s6, s1
	v_mul_u32_u24_e32 v35, 0xccd, v0
	s_subb_u32 s6, 0, s7
	s_mul_hi_u32 s7, s1, 20
	s_mul_i32 s1, s1, 20
	v_lshrrev_b32_e32 v47, 16, v35
	s_mul_i32 s6, s6, 20
	s_mul_i32 s3, s14, s1
	s_waitcnt lgkmcnt(0)
	s_mul_i32 s0, s22, s0
	v_mul_lo_u16_e32 v1, 20, v47
	s_add_i32 s6, s7, s6
	s_add_i32 s0, s0, s3
	s_mul_i32 s2, s2, s26
	v_sub_u16_e32 v36, v0, v1
	s_add_i32 s7, s2, s0
	v_mov_b32_e32 v1, s6
	v_add_co_u32_e32 v39, vcc, s1, v36
	v_addc_co_u32_e32 v40, vcc, 0, v1, vcc
	s_add_u32 s0, s1, 20
	v_mad_u64_u32 v[37:38], s[2:3], s14, v36, 0
	v_mul_lo_u32 v46, s12, v47
	v_mov_b32_e32 v1, s10
	s_addc_u32 s1, s6, 0
	v_mov_b32_e32 v2, s11
	v_cmp_le_u64_e32 vcc, s[0:1], v[1:2]
	v_cmp_gt_u64_e64 s[0:1], s[10:11], v[39:40]
	v_add_lshl_u32 v1, v37, v46, 3
	s_or_b64 s[2:3], vcc, s[0:1]
	v_add_u32_e32 v44, 10, v47
	v_cndmask_b32_e64 v13, -1, v1, s[2:3]
	v_mul_lo_u32 v1, s12, v44
	v_add_u32_e32 v2, 0x5a, v47
	v_mul_lo_u32 v2, s12, v2
	s_lshl_b32 s13, s7, 3
	v_add_lshl_u32 v1, v37, v1, 3
	v_cndmask_b32_e64 v5, -1, v1, s[2:3]
	v_add_lshl_u32 v1, v37, v2, 3
	s_mov_b32 s11, 0x20000
	s_mov_b32 s10, -2
	v_cndmask_b32_e64 v6, -1, v1, s[2:3]
	buffer_load_dwordx2 v[1:2], v5, s[8:11], s13 offen
	buffer_load_dwordx2 v[3:4], v6, s[8:11], s13 offen
	v_add_u32_e32 v5, 20, v47
	v_add_u32_e32 v6, 0x64, v47
	;; [unrolled: 1-line block ×4, first 2 shown]
	v_mul_lo_u32 v5, s12, v5
	v_mul_lo_u32 v6, s12, v6
	;; [unrolled: 1-line block ×4, first 2 shown]
	v_add_lshl_u32 v5, v37, v5, 3
	v_add_lshl_u32 v6, v37, v6, 3
	v_cndmask_b32_e64 v14, -1, v5, s[2:3]
	v_cndmask_b32_e64 v15, -1, v6, s[2:3]
	v_add_lshl_u32 v5, v37, v7, 3
	v_add_lshl_u32 v6, v37, v8, 3
	v_cndmask_b32_e64 v16, -1, v5, s[2:3]
	v_cndmask_b32_e64 v17, -1, v6, s[2:3]
	v_add_u32_e32 v40, 40, v47
	buffer_load_dwordx2 v[5:6], v14, s[8:11], s13 offen
	buffer_load_dwordx2 v[7:8], v15, s[8:11], s13 offen
	buffer_load_dwordx2 v[9:10], v16, s[8:11], s13 offen
	buffer_load_dwordx2 v[11:12], v17, s[8:11], s13 offen
	v_mul_lo_u32 v17, s12, v40
	v_add_u32_e32 v16, 0x78, v47
	v_mul_lo_u32 v18, s12, v16
	v_or_b32_e32 v48, 0x50, v47
	v_add_lshl_u32 v17, v37, v17, 3
	v_mul_lo_u32 v45, s12, v48
	v_cndmask_b32_e64 v21, -1, v17, s[2:3]
	v_add_lshl_u32 v17, v37, v18, 3
	v_add_u32_e32 v18, 50, v47
	v_mul_lo_u32 v18, s12, v18
	v_add_u32_e32 v19, 0x82, v47
	v_mul_lo_u32 v19, s12, v19
	v_add_lshl_u32 v14, v37, v45, 3
	v_cndmask_b32_e64 v15, -1, v14, s[2:3]
	v_cndmask_b32_e64 v22, -1, v17, s[2:3]
	v_add_lshl_u32 v17, v37, v18, 3
	buffer_load_dwordx2 v[13:14], v13, s[8:11], s13 offen
	v_cndmask_b32_e64 v25, -1, v17, s[2:3]
	buffer_load_dwordx2 v[15:16], v15, s[8:11], s13 offen
	v_add_lshl_u32 v17, v37, v19, 3
	v_add_u32_e32 v41, 60, v47
	v_cndmask_b32_e64 v26, -1, v17, s[2:3]
	v_mul_lo_u32 v27, s12, v41
	v_add_u32_e32 v23, 0x8c, v47
	buffer_load_dwordx2 v[17:18], v21, s[8:11], s13 offen
	buffer_load_dwordx2 v[19:20], v22, s[8:11], s13 offen
	v_mul_lo_u32 v28, s12, v23
	buffer_load_dwordx2 v[21:22], v25, s[8:11], s13 offen
	buffer_load_dwordx2 v[23:24], v26, s[8:11], s13 offen
	v_add_u32_e32 v26, 0x46, v47
	v_mul_lo_u32 v30, s12, v26
	v_add_u32_e32 v26, 0x96, v47
	v_mul_lo_u32 v31, s12, v26
	v_add_lshl_u32 v25, v37, v27, 3
	v_cndmask_b32_e64 v29, -1, v25, s[2:3]
	v_add_lshl_u32 v25, v37, v28, 3
	v_cndmask_b32_e64 v32, -1, v25, s[2:3]
	buffer_load_dwordx2 v[25:26], v29, s[8:11], s13 offen
	buffer_load_dwordx2 v[27:28], v32, s[8:11], s13 offen
	v_add_lshl_u32 v29, v37, v30, 3
	v_cndmask_b32_e64 v33, -1, v29, s[2:3]
	v_add_lshl_u32 v29, v37, v31, 3
	v_cndmask_b32_e64 v34, -1, v29, s[2:3]
	buffer_load_dwordx2 v[29:30], v33, s[8:11], s13 offen
	buffer_load_dwordx2 v[31:32], v34, s[8:11], s13 offen
	s_movk_i32 s6, 0x3200
	s_movk_i32 s18, 0x78
	s_waitcnt vmcnt(14)
	v_sub_f32_e32 v33, v1, v3
	v_sub_f32_e32 v34, v2, v4
	v_mul_u32_u24_e32 v4, 0x140, v47
	v_lshlrev_b32_e32 v3, 3, v36
	v_add3_u32 v36, 0, v4, v3
	v_fma_f32 v1, v1, 2.0, -v33
	v_fma_f32 v2, v2, 2.0, -v34
	v_add_u32_e32 v4, 0x800, v36
	ds_write2_b64 v4, v[1:2], v[33:34] offset0:144 offset1:164
	s_waitcnt vmcnt(12)
	v_sub_f32_e32 v1, v5, v7
	v_sub_f32_e32 v2, v6, v8
	v_fma_f32 v4, v5, 2.0, -v1
	v_fma_f32 v5, v6, 2.0, -v2
	v_add_u32_e32 v6, 0x1800, v36
	ds_write2_b64 v6, v[4:5], v[1:2] offset0:32 offset1:52
	s_waitcnt vmcnt(10)
	v_sub_f32_e32 v1, v9, v11
	v_sub_f32_e32 v2, v10, v12
	v_fma_f32 v4, v9, 2.0, -v1
	v_fma_f32 v5, v10, 2.0, -v2
	v_add_u32_e32 v6, 0x2000, v36
	ds_write2_b64 v6, v[4:5], v[1:2] offset0:176 offset1:196
	v_add_u32_e32 v6, 0x3800, v36
	s_waitcnt vmcnt(8)
	v_sub_f32_e32 v1, v13, v15
	v_sub_f32_e32 v2, v14, v16
	v_fma_f32 v4, v13, 2.0, -v1
	v_fma_f32 v5, v14, 2.0, -v2
	ds_write2_b64 v36, v[4:5], v[1:2] offset1:20
	s_waitcnt vmcnt(6)
	v_sub_f32_e32 v4, v17, v19
	v_sub_f32_e32 v5, v18, v20
	v_fma_f32 v1, v17, 2.0, -v4
	v_fma_f32 v2, v18, 2.0, -v5
	ds_write_b64 v36, v[1:2] offset:12800
	v_add_u32_e32 v1, 0x3000, v36
	ds_write2_b32 v1, v4, v5 offset0:168 offset1:169
	s_waitcnt vmcnt(4)
	v_sub_f32_e32 v1, v21, v23
	v_sub_f32_e32 v2, v22, v24
	v_fma_f32 v4, v21, 2.0, -v1
	v_fma_f32 v5, v22, 2.0, -v2
	ds_write2_b64 v6, v[4:5], v[1:2] offset0:208 offset1:228
	s_waitcnt vmcnt(2)
	v_sub_f32_e32 v1, v25, v27
	v_sub_f32_e32 v2, v26, v28
	v_fma_f32 v4, v25, 2.0, -v1
	v_fma_f32 v5, v26, 2.0, -v2
	v_add_u32_e32 v6, 0x4800, v36
	ds_write2_b32 v6, v4, v5 offset0:192 offset1:193
	ds_write2_b32 v6, v1, v2 offset0:232 offset1:233
	s_waitcnt vmcnt(0)
	v_sub_f32_e32 v1, v29, v31
	v_sub_f32_e32 v2, v30, v32
	v_fma_f32 v4, v29, 2.0, -v1
	v_fma_f32 v5, v30, 2.0, -v2
	v_add_u32_e32 v6, 0x5400, v36
	ds_write2_b64 v6, v[4:5], v[1:2] offset0:112 offset1:132
	v_bfe_u32 v1, v35, 16, 1
	v_mul_u32_u24_e32 v1, 7, v1
	v_lshlrev_b32_e32 v16, 3, v1
	s_waitcnt lgkmcnt(0)
	s_barrier
	global_load_dwordx4 v[4:7], v16, s[16:17]
	global_load_dwordx4 v[8:11], v16, s[16:17] offset:16
	global_load_dwordx4 v[12:15], v16, s[16:17] offset:32
	global_load_dwordx2 v[1:2], v16, s[16:17] offset:48
	v_mul_u32_u24_e32 v16, 0xa0, v47
	v_add3_u32 v38, 0, v16, v3
	v_add_u32_e32 v16, 0xc00, v38
	ds_read2_b64 v[16:19], v16 offset0:16 offset1:216
	s_waitcnt vmcnt(3) lgkmcnt(0)
	v_mul_f32_e32 v24, v5, v17
	v_fmac_f32_e32 v24, v4, v16
	v_mul_f32_e32 v16, v5, v16
	v_fma_f32 v25, v4, v17, -v16
	v_mul_i32_i24_e32 v16, 0xffffff60, v40
	v_add3_u32 v16, v36, s6, v16
	ds_read_b64 v[16:17], v16
	v_mul_f32_e32 v26, v19, v5
	v_mul_f32_e32 v5, v18, v5
	v_fmac_f32_e32 v26, v18, v4
	v_fma_f32 v27, v19, v4, -v5
	s_waitcnt lgkmcnt(0)
	v_mul_f32_e32 v4, v7, v16
	v_mul_f32_e32 v28, v7, v17
	v_fma_f32 v29, v6, v17, -v4
	ds_read_b64 v[4:5], v38 offset:8000
	ds_read_b64 v[20:21], v38 offset:24000
	v_fmac_f32_e32 v28, v6, v16
	v_add_u32_e32 v16, 0x2b00, v38
	ds_read2_b64 v[16:19], v16 offset0:24 offset1:224
	ds_read_b64 v[22:23], v38
	s_waitcnt lgkmcnt(3)
	v_mul_f32_e32 v30, v5, v7
	v_fmac_f32_e32 v30, v4, v6
	v_mul_f32_e32 v4, v4, v7
	v_fma_f32 v31, v5, v6, -v4
	s_waitcnt vmcnt(2) lgkmcnt(1)
	v_mul_f32_e32 v4, v18, v11
	v_fma_f32 v33, v19, v10, -v4
	v_mul_i32_i24_e32 v4, 0xffffff60, v41
	s_movk_i32 s6, 0x4b00
	v_add3_u32 v35, v36, s6, v4
	v_mul_f32_e32 v4, v16, v9
	v_fma_f32 v36, v17, v8, -v4
	v_add_u32_e32 v4, 0x3800, v38
	ds_read2_b64 v[4:7], v4 offset0:8 offset1:208
	v_mul_f32_e32 v32, v19, v11
	v_fmac_f32_e32 v32, v18, v10
	ds_read_b64 v[18:19], v35
	v_mul_f32_e32 v34, v17, v9
	s_waitcnt lgkmcnt(1)
	v_mul_f32_e32 v40, v5, v11
	v_fmac_f32_e32 v40, v4, v10
	v_mul_f32_e32 v4, v4, v11
	v_fmac_f32_e32 v34, v16, v8
	s_waitcnt lgkmcnt(0)
	v_mul_f32_e32 v16, v9, v19
	v_mul_f32_e32 v9, v9, v18
	v_fma_f32 v41, v5, v10, -v4
	v_add_u32_e32 v4, 0x4400, v38
	v_fmac_f32_e32 v16, v8, v18
	v_fma_f32 v17, v8, v19, -v9
	ds_read2_b64 v[8:11], v4 offset0:24 offset1:224
	s_waitcnt vmcnt(1)
	v_mul_f32_e32 v4, v6, v13
	v_fma_f32 v19, v7, v12, -v4
	v_mul_f32_e32 v18, v7, v13
	v_fmac_f32_e32 v18, v6, v12
	s_waitcnt lgkmcnt(0)
	v_mul_f32_e32 v42, v11, v15
	v_mul_f32_e32 v4, v10, v15
	v_fmac_f32_e32 v42, v10, v14
	v_fma_f32 v10, v11, v14, -v4
	v_add_u32_e32 v4, 0x5000, v38
	ds_read2_b64 v[4:7], v4 offset0:40 offset1:240
	v_mul_f32_e32 v43, v9, v13
	v_fmac_f32_e32 v43, v8, v12
	v_mul_f32_e32 v8, v8, v13
	v_fma_f32 v49, v9, v12, -v8
	s_waitcnt lgkmcnt(0)
	v_mul_f32_e32 v50, v5, v15
	v_fmac_f32_e32 v50, v4, v14
	v_mul_f32_e32 v4, v4, v15
	v_fma_f32 v51, v5, v14, -v4
	s_waitcnt vmcnt(0)
	v_mul_f32_e32 v5, v6, v2
	v_mul_f32_e32 v4, v7, v2
	v_fma_f32 v5, v7, v1, -v5
	v_sub_f32_e32 v9, v23, v33
	v_fmac_f32_e32 v4, v6, v1
	v_sub_f32_e32 v8, v22, v32
	v_fma_f32 v7, v23, 2.0, -v9
	v_sub_f32_e32 v15, v25, v19
	v_sub_f32_e32 v23, v17, v5
	v_fma_f32 v6, v22, 2.0, -v8
	v_sub_f32_e32 v14, v24, v18
	v_fma_f32 v19, v25, 2.0, -v15
	;; [unrolled: 2-line block ×3, first 2 shown]
	v_sub_f32_e32 v11, v28, v42
	v_sub_f32_e32 v10, v29, v10
	v_fma_f32 v18, v24, 2.0, -v14
	v_fma_f32 v4, v16, 2.0, -v22
	v_sub_f32_e32 v25, v19, v5
	v_fma_f32 v13, v29, 2.0, -v10
	v_sub_f32_e32 v24, v18, v4
	v_fma_f32 v5, v19, 2.0, -v25
	v_add_f32_e32 v10, v8, v10
	v_sub_f32_e32 v19, v9, v11
	v_fma_f32 v12, v28, 2.0, -v11
	v_sub_f32_e32 v17, v7, v13
	v_fma_f32 v4, v18, 2.0, -v24
	v_fma_f32 v11, v8, 2.0, -v10
	v_fma_f32 v13, v9, 2.0, -v19
	v_add_f32_e32 v18, v14, v23
	v_sub_f32_e32 v22, v15, v22
	v_sub_f32_e32 v16, v6, v12
	v_fma_f32 v12, v14, 2.0, -v18
	v_fma_f32 v14, v15, 2.0, -v22
	v_mov_b32_e32 v8, v11
	v_mov_b32_e32 v9, v13
	v_lshl_or_b32 v29, v47, 3, v47
	v_fma_f32 v6, v6, 2.0, -v16
	v_fma_f32 v7, v7, 2.0, -v17
	v_fmac_f32_e32 v8, 0xbf3504f3, v12
	v_fmac_f32_e32 v9, 0xbf3504f3, v14
	v_and_b32_e32 v29, 0x71, v29
	v_sub_f32_e32 v4, v6, v4
	v_sub_f32_e32 v5, v7, v5
	v_fmac_f32_e32 v8, 0x3f3504f3, v14
	v_fmac_f32_e32 v9, 0xbf3504f3, v12
	v_mul_u32_u24_e32 v29, 0xa0, v29
	v_fma_f32 v6, v6, 2.0, -v4
	v_fma_f32 v7, v7, 2.0, -v5
	;; [unrolled: 1-line block ×4, first 2 shown]
	v_add_u32_e32 v11, 0xffffe0c0, v35
	v_add3_u32 v29, 0, v29, v3
	ds_read_b32 v23, v11
	ds_read_b32 v28, v11 offset:4
	ds_read_b64 v[14:15], v11
	s_waitcnt lgkmcnt(0)
	s_barrier
	ds_write2_b64 v29, v[6:7], v[12:13] offset1:40
	v_add_f32_e32 v6, v16, v25
	v_sub_f32_e32 v7, v17, v24
	v_fma_f32 v12, v16, 2.0, -v6
	v_fma_f32 v13, v17, 2.0, -v7
	v_mov_b32_e32 v16, v10
	v_mov_b32_e32 v17, v19
	v_fmac_f32_e32 v16, 0x3f3504f3, v18
	v_fmac_f32_e32 v17, 0x3f3504f3, v22
	;; [unrolled: 1-line block ×4, first 2 shown]
	v_fma_f32 v18, v10, 2.0, -v16
	v_fma_f32 v19, v19, 2.0, -v17
	ds_write2_b64 v29, v[12:13], v[18:19] offset0:80 offset1:120
	ds_write2_b64 v29, v[4:5], v[8:9] offset0:160 offset1:200
	v_add_u32_e32 v4, 0x400, v29
	ds_write2_b64 v4, v[6:7], v[16:17] offset0:112 offset1:152
	v_mul_f32_e32 v4, v21, v2
	v_mul_f32_e32 v2, v20, v2
	v_fmac_f32_e32 v4, v20, v1
	v_fma_f32 v1, v21, v1, -v2
	v_sub_f32_e32 v2, v14, v40
	v_sub_f32_e32 v6, v15, v41
	;; [unrolled: 1-line block ×8, first 2 shown]
	v_fma_f32 v5, v23, 2.0, -v2
	v_fma_f32 v7, v28, 2.0, -v6
	;; [unrolled: 1-line block ×8, first 2 shown]
	v_sub_f32_e32 v10, v5, v10
	v_sub_f32_e32 v12, v7, v12
	;; [unrolled: 1-line block ×4, first 2 shown]
	v_fma_f32 v5, v5, 2.0, -v10
	v_fma_f32 v7, v7, 2.0, -v12
	;; [unrolled: 1-line block ×4, first 2 shown]
	v_sub_f32_e32 v15, v5, v4
	v_sub_f32_e32 v16, v7, v16
	v_add_f32_e32 v20, v2, v9
	v_sub_f32_e32 v8, v6, v8
	v_fma_f32 v4, v5, 2.0, -v15
	v_fma_f32 v5, v7, 2.0, -v16
	;; [unrolled: 1-line block ×4, first 2 shown]
	v_add_f32_e32 v21, v13, v1
	v_sub_f32_e32 v17, v14, v17
	v_fma_f32 v6, v13, 2.0, -v21
	v_fma_f32 v13, v14, 2.0, -v17
	v_mov_b32_e32 v1, v7
	v_mov_b32_e32 v2, v9
	v_fmac_f32_e32 v1, 0xbf3504f3, v6
	v_fmac_f32_e32 v2, 0xbf3504f3, v13
	;; [unrolled: 1-line block ×4, first 2 shown]
	v_fma_f32 v6, v7, 2.0, -v1
	v_fma_f32 v7, v9, 2.0, -v2
	v_lshl_or_b32 v9, v44, 3, v47
	v_and_b32_e32 v9, 0x3f1, v9
	v_mul_u32_u24_e32 v9, 0xa0, v9
	v_add3_u32 v22, 0, v9, v3
	v_add_f32_e32 v3, v10, v18
	v_fma_f32 v40, v10, 2.0, -v3
	v_mov_b32_e32 v9, v20
	v_mov_b32_e32 v10, v8
	v_fmac_f32_e32 v9, 0x3f3504f3, v21
	v_fmac_f32_e32 v10, 0x3f3504f3, v17
	ds_write2_b64 v22, v[4:5], v[6:7] offset1:40
	v_sub_f32_e32 v4, v12, v19
	v_fmac_f32_e32 v9, 0x3f3504f3, v17
	v_fmac_f32_e32 v10, 0xbf3504f3, v21
	v_fma_f32 v41, v12, 2.0, -v4
	v_fma_f32 v13, v20, 2.0, -v9
	;; [unrolled: 1-line block ×3, first 2 shown]
	v_add_u32_e32 v5, 0x400, v22
	ds_write2_b64 v22, v[40:41], v[13:14] offset0:80 offset1:120
	ds_write2_b64 v22, v[15:16], v[1:2] offset0:160 offset1:200
	;; [unrolled: 1-line block ×3, first 2 shown]
	s_waitcnt lgkmcnt(0)
	s_barrier
	ds_read2st64_b64 v[5:8], v38 offset1:5
	ds_read2st64_b64 v[33:36], v38 offset0:10 offset1:15
	ds_read2st64_b64 v[29:32], v38 offset0:20 offset1:25
	ds_read2st64_b64 v[25:28], v38 offset0:30 offset1:35
	ds_read2st64_b64 v[21:24], v38 offset0:40 offset1:45
	v_cmp_gt_u32_e64 s[6:7], s18, v0
                                        ; implicit-def: $vgpr43
                                        ; implicit-def: $vgpr20
	s_and_saveexec_b64 s[14:15], s[6:7]
	s_cbranch_execz .LBB0_8
; %bb.7:
	v_add_u32_e32 v17, 64, v38
	ds_read2_b32 v[40:41], v11 offset1:1
	ds_read2st64_b64 v[13:16], v17 offset0:8 offset1:13
	ds_read2st64_b64 v[1:4], v17 offset0:18 offset1:23
	;; [unrolled: 1-line block ×4, first 2 shown]
	ds_read_b64 v[42:43], v38 offset:24640
.LBB0_8:
	s_or_b64 exec, exec, s[14:15]
	v_mul_u32_u24_e32 v38, 9, v47
	v_lshlrev_b32_e32 v69, 3, v38
	global_load_dwordx4 v[49:52], v69, s[16:17] offset:112
	global_load_dwordx4 v[53:56], v69, s[16:17] offset:128
	;; [unrolled: 1-line block ×4, first 2 shown]
	v_and_b32_e32 v38, 15, v44
	v_mul_u32_u24_e32 v65, 9, v38
	v_lshlrev_b32_e32 v70, 3, v65
	global_load_dwordx4 v[65:68], v70, s[16:17] offset:128
	s_load_dwordx2 s[4:5], s[4:5], 0x8
	v_add_lshl_u32 v46, v37, v46, 3
	v_cndmask_b32_e64 v46, -1, v46, s[2:3]
	s_waitcnt vmcnt(4) lgkmcnt(0)
	v_mul_f32_e32 v72, v52, v34
	v_mul_f32_e32 v71, v50, v8
	;; [unrolled: 1-line block ×4, first 2 shown]
	v_fmac_f32_e32 v72, v51, v33
	s_waitcnt vmcnt(3)
	v_mul_f32_e32 v33, v54, v35
	v_mul_f32_e32 v76, v56, v30
	v_fmac_f32_e32 v71, v49, v7
	v_fma_f32 v73, v49, v8, -v50
	global_load_dwordx2 v[7:8], v69, s[16:17] offset:176
	v_fma_f32 v75, v53, v36, -v33
	v_mul_f32_e32 v33, v56, v29
	v_fmac_f32_e32 v76, v55, v29
	s_waitcnt vmcnt(3)
	v_mul_f32_e32 v29, v58, v31
	v_mul_f32_e32 v78, v60, v26
	v_fma_f32 v69, v51, v34, -v52
	global_load_dwordx4 v[49:52], v70, s[16:17] offset:112
	v_mul_f32_e32 v77, v58, v32
	v_fma_f32 v58, v57, v32, -v29
	v_mul_f32_e32 v29, v60, v25
	s_waitcnt vmcnt(3)
	v_mul_f32_e32 v60, v62, v28
	v_fmac_f32_e32 v78, v59, v25
	v_mul_f32_e32 v25, v62, v27
	v_mul_f32_e32 v74, v54, v36
	v_fma_f32 v30, v55, v30, -v33
	v_fmac_f32_e32 v77, v57, v31
	v_fma_f32 v59, v59, v26, -v29
	global_load_dwordx4 v[54:57], v70, s[16:17] offset:160
	v_fmac_f32_e32 v60, v61, v27
	v_fma_f32 v27, v61, v28, -v25
	global_load_dwordx2 v[25:26], v70, s[16:17] offset:176
	v_fmac_f32_e32 v74, v53, v35
	global_load_dwordx4 v[33:36], v70, s[16:17] offset:144
	v_mul_f32_e32 v28, v64, v22
	v_mul_f32_e32 v29, v64, v21
	v_fmac_f32_e32 v28, v63, v21
	v_fma_f32 v21, v63, v22, -v29
	s_waitcnt vmcnt(5)
	v_mul_f32_e32 v63, v4, v68
	v_mul_f32_e32 v31, v2, v66
	v_fmac_f32_e32 v63, v3, v67
	v_fmac_f32_e32 v31, v1, v65
	s_waitcnt vmcnt(4)
	v_mul_f32_e32 v61, v24, v8
	v_mul_f32_e32 v8, v23, v8
	v_fmac_f32_e32 v61, v23, v7
	v_fma_f32 v8, v24, v7, -v8
	v_mul_f32_e32 v24, v1, v66
	v_fma_f32 v1, v2, v65, -v24
	s_waitcnt vmcnt(3)
	v_mul_f32_e32 v7, v14, v50
	v_mul_f32_e32 v22, v13, v50
	;; [unrolled: 1-line block ×5, first 2 shown]
	v_fma_f32 v52, v4, v67, -v50
	v_fma_f32 v29, v14, v49, -v22
	v_fmac_f32_e32 v7, v13, v49
	v_fmac_f32_e32 v62, v15, v51
	v_fma_f32 v49, v16, v51, -v23
	s_waitcnt vmcnt(2)
	v_mul_f32_e32 v15, v17, v55
	v_mul_f32_e32 v16, v19, v57
	v_fma_f32 v3, v18, v54, -v15
	s_waitcnt vmcnt(1)
	v_mul_f32_e32 v4, v42, v26
	s_waitcnt vmcnt(0)
	v_mul_f32_e32 v64, v12, v36
	v_mul_f32_e32 v14, v11, v36
	;; [unrolled: 1-line block ×3, first 2 shown]
	v_fma_f32 v43, v43, v25, -v4
	v_add_f32_e32 v4, v5, v72
	v_add_f32_e32 v4, v4, v76
	;; [unrolled: 1-line block ×3, first 2 shown]
	v_mul_f32_e32 v32, v10, v34
	v_mul_f32_e32 v13, v9, v34
	;; [unrolled: 1-line block ×3, first 2 shown]
	v_fma_f32 v53, v12, v35, -v14
	v_add_f32_e32 v12, v4, v28
	v_add_f32_e32 v4, v76, v78
	v_fmac_f32_e32 v34, v17, v54
	v_fma_f32 v54, v20, v56, -v16
	v_fma_f32 v16, -0.5, v4, v5
	v_fma_f32 v2, v10, v33, -v13
	v_sub_f32_e32 v4, v69, v21
	v_mov_b32_e32 v13, v16
	v_fmac_f32_e32 v32, v9, v33
	v_fmac_f32_e32 v64, v11, v35
	;; [unrolled: 1-line block ×3, first 2 shown]
	v_sub_f32_e32 v9, v30, v59
	v_sub_f32_e32 v10, v72, v76
	;; [unrolled: 1-line block ×3, first 2 shown]
	v_fmac_f32_e32 v16, 0x3f737871, v4
	v_fmac_f32_e32 v13, 0xbf167918, v9
	v_add_f32_e32 v10, v10, v11
	v_fmac_f32_e32 v16, 0x3f167918, v9
	v_fmac_f32_e32 v13, 0x3e9e377a, v10
	;; [unrolled: 1-line block ×3, first 2 shown]
	v_add_f32_e32 v10, v72, v28
	v_fma_f32 v17, -0.5, v10, v5
	v_mov_b32_e32 v14, v17
	v_fmac_f32_e32 v14, 0x3f737871, v9
	v_fmac_f32_e32 v17, 0xbf737871, v9
	;; [unrolled: 1-line block ×4, first 2 shown]
	v_add_f32_e32 v4, v6, v69
	v_add_f32_e32 v4, v4, v30
	;; [unrolled: 1-line block ×3, first 2 shown]
	v_mul_f32_e32 v55, v20, v57
	v_add_f32_e32 v18, v4, v21
	v_add_f32_e32 v4, v30, v59
	v_fmac_f32_e32 v55, v19, v56
	v_sub_f32_e32 v5, v76, v72
	v_sub_f32_e32 v10, v78, v28
	v_fma_f32 v19, -0.5, v4, v6
	v_add_f32_e32 v5, v5, v10
	v_sub_f32_e32 v4, v72, v28
	v_mov_b32_e32 v22, v19
	v_fmac_f32_e32 v14, 0x3e9e377a, v5
	v_fmac_f32_e32 v17, 0x3e9e377a, v5
	;; [unrolled: 1-line block ×3, first 2 shown]
	v_sub_f32_e32 v5, v76, v78
	v_sub_f32_e32 v9, v69, v30
	;; [unrolled: 1-line block ×3, first 2 shown]
	v_fmac_f32_e32 v19, 0xbf737871, v4
	v_fmac_f32_e32 v22, 0x3f167918, v5
	v_add_f32_e32 v9, v9, v10
	v_fmac_f32_e32 v19, 0xbf167918, v5
	v_fmac_f32_e32 v22, 0x3e9e377a, v9
	;; [unrolled: 1-line block ×3, first 2 shown]
	v_add_f32_e32 v9, v69, v21
	v_fma_f32 v23, -0.5, v9, v6
	v_mov_b32_e32 v24, v23
	v_fmac_f32_e32 v24, 0xbf737871, v5
	v_fmac_f32_e32 v23, 0x3f737871, v5
	;; [unrolled: 1-line block ×4, first 2 shown]
	v_add_f32_e32 v4, v71, v74
	v_add_f32_e32 v4, v4, v77
	;; [unrolled: 1-line block ×5, first 2 shown]
	v_sub_f32_e32 v6, v30, v69
	v_sub_f32_e32 v9, v59, v21
	v_fma_f32 v10, -0.5, v4, v71
	v_add_f32_e32 v6, v6, v9
	v_sub_f32_e32 v4, v75, v8
	v_mov_b32_e32 v9, v10
	v_fmac_f32_e32 v24, 0x3e9e377a, v6
	v_fmac_f32_e32 v23, 0x3e9e377a, v6
	;; [unrolled: 1-line block ×3, first 2 shown]
	v_sub_f32_e32 v5, v58, v27
	v_sub_f32_e32 v6, v74, v77
	;; [unrolled: 1-line block ×3, first 2 shown]
	v_fmac_f32_e32 v10, 0x3f737871, v4
	v_fmac_f32_e32 v9, 0xbf167918, v5
	v_add_f32_e32 v6, v6, v11
	v_fmac_f32_e32 v10, 0x3f167918, v5
	v_fmac_f32_e32 v9, 0x3e9e377a, v6
	;; [unrolled: 1-line block ×3, first 2 shown]
	v_add_f32_e32 v6, v74, v61
	v_fmac_f32_e32 v71, -0.5, v6
	v_mov_b32_e32 v20, v71
	v_fmac_f32_e32 v20, 0x3f737871, v5
	v_fmac_f32_e32 v71, 0xbf737871, v5
	;; [unrolled: 1-line block ×4, first 2 shown]
	v_add_f32_e32 v4, v73, v75
	v_add_f32_e32 v4, v4, v58
	;; [unrolled: 1-line block ×3, first 2 shown]
	v_fmac_f32_e32 v36, v42, v25
	v_add_f32_e32 v25, v4, v8
	v_add_f32_e32 v4, v58, v27
	v_sub_f32_e32 v6, v77, v74
	v_sub_f32_e32 v11, v60, v61
	v_fma_f32 v21, -0.5, v4, v73
	v_add_f32_e32 v6, v6, v11
	v_sub_f32_e32 v4, v74, v61
	v_mov_b32_e32 v26, v21
	v_fmac_f32_e32 v20, 0x3e9e377a, v6
	v_fmac_f32_e32 v71, 0x3e9e377a, v6
	;; [unrolled: 1-line block ×3, first 2 shown]
	v_sub_f32_e32 v5, v77, v60
	v_sub_f32_e32 v6, v75, v58
	;; [unrolled: 1-line block ×3, first 2 shown]
	v_fmac_f32_e32 v21, 0xbf737871, v4
	v_fmac_f32_e32 v26, 0x3f167918, v5
	v_add_f32_e32 v6, v6, v11
	v_fmac_f32_e32 v21, 0xbf167918, v5
	v_fmac_f32_e32 v26, 0x3e9e377a, v6
	;; [unrolled: 1-line block ×3, first 2 shown]
	v_add_f32_e32 v6, v75, v8
	v_fmac_f32_e32 v73, -0.5, v6
	v_mov_b32_e32 v28, v73
	v_sub_f32_e32 v6, v58, v75
	v_sub_f32_e32 v8, v27, v8
	v_fmac_f32_e32 v73, 0x3f737871, v5
	v_add_f32_e32 v6, v6, v8
	v_fmac_f32_e32 v73, 0xbf167918, v4
	v_fmac_f32_e32 v73, 0x3e9e377a, v6
	v_fmac_f32_e32 v28, 0xbf737871, v5
	v_mul_f32_e32 v35, 0xbf737871, v73
	v_fmac_f32_e32 v28, 0x3f167918, v4
	v_fmac_f32_e32 v35, 0xbe9e377a, v71
	;; [unrolled: 1-line block ×3, first 2 shown]
	v_add_f32_e32 v6, v17, v35
	v_mul_f32_e32 v42, 0xbf167918, v21
	v_mul_f32_e32 v57, 0xbf4f1bbd, v21
	v_sub_f32_e32 v21, v17, v35
	v_add_f32_e32 v17, v40, v62
	v_mul_f32_e32 v27, 0xbf167918, v26
	v_mul_f32_e32 v33, 0xbf737871, v28
	;; [unrolled: 1-line block ×4, first 2 shown]
	v_add_f32_e32 v17, v17, v63
	v_fmac_f32_e32 v42, 0xbf4f1bbd, v10
	v_fmac_f32_e32 v26, 0x3f167918, v9
	;; [unrolled: 1-line block ×3, first 2 shown]
	v_mul_f32_e32 v56, 0xbe9e377a, v73
	v_add_f32_e32 v17, v17, v64
	v_fmac_f32_e32 v33, 0x3e9e377a, v20
	v_add_f32_e32 v11, v16, v42
	v_add_f32_e32 v4, v22, v26
	;; [unrolled: 1-line block ×3, first 2 shown]
	v_fmac_f32_e32 v56, 0x3f737871, v71
	v_sub_f32_e32 v20, v16, v42
	v_sub_f32_e32 v16, v22, v26
	;; [unrolled: 1-line block ×3, first 2 shown]
	v_add_f32_e32 v24, v17, v55
	v_add_f32_e32 v17, v63, v64
	;; [unrolled: 1-line block ×3, first 2 shown]
	v_fmac_f32_e32 v27, 0x3f4f1bbd, v9
	v_add_f32_e32 v51, v18, v25
	v_add_f32_e32 v9, v23, v56
	v_sub_f32_e32 v15, v12, v15
	v_sub_f32_e32 v12, v18, v25
	;; [unrolled: 1-line block ×3, first 2 shown]
	v_fma_f32 v23, -0.5, v17, v40
	v_sub_f32_e32 v17, v49, v54
	v_mov_b32_e32 v25, v23
	v_add_f32_e32 v8, v13, v27
	v_sub_f32_e32 v13, v13, v27
	v_fmac_f32_e32 v25, 0xbf737871, v17
	v_sub_f32_e32 v27, v52, v53
	v_sub_f32_e32 v26, v62, v63
	;; [unrolled: 1-line block ×3, first 2 shown]
	v_fmac_f32_e32 v23, 0x3f737871, v17
	v_fmac_f32_e32 v25, 0xbf167918, v27
	v_add_f32_e32 v26, v26, v28
	v_fmac_f32_e32 v23, 0x3f167918, v27
	v_fmac_f32_e32 v25, 0x3e9e377a, v26
	;; [unrolled: 1-line block ×3, first 2 shown]
	v_add_f32_e32 v26, v62, v55
	v_fmac_f32_e32 v40, -0.5, v26
	v_mov_b32_e32 v26, v40
	v_fmac_f32_e32 v26, 0x3f737871, v27
	v_fmac_f32_e32 v40, 0xbf737871, v27
	;; [unrolled: 1-line block ×4, first 2 shown]
	v_add_f32_e32 v17, v41, v49
	v_add_f32_e32 v17, v17, v52
	;; [unrolled: 1-line block ×4, first 2 shown]
	v_sub_f32_e32 v14, v14, v33
	v_sub_f32_e32 v28, v63, v62
	;; [unrolled: 1-line block ×3, first 2 shown]
	v_add_f32_e32 v27, v17, v54
	v_add_f32_e32 v17, v52, v53
	;; [unrolled: 1-line block ×3, first 2 shown]
	v_fma_f32 v17, -0.5, v17, v41
	v_fmac_f32_e32 v26, 0x3e9e377a, v28
	v_fmac_f32_e32 v40, 0x3e9e377a, v28
	v_sub_f32_e32 v55, v62, v55
	v_mov_b32_e32 v28, v17
	v_mul_lo_u32 v42, v39, v47
	v_fmac_f32_e32 v28, 0x3f737871, v55
	v_sub_f32_e32 v56, v63, v64
	v_sub_f32_e32 v33, v49, v52
	v_sub_f32_e32 v35, v54, v53
	v_fmac_f32_e32 v17, 0xbf737871, v55
	v_fmac_f32_e32 v28, 0x3f167918, v56
	v_add_f32_e32 v33, v33, v35
	v_fmac_f32_e32 v17, 0xbf167918, v56
	v_fmac_f32_e32 v28, 0x3e9e377a, v33
	v_fmac_f32_e32 v17, 0x3e9e377a, v33
	v_add_f32_e32 v33, v49, v54
	v_mov_b32_e32 v35, 3
	v_fmac_f32_e32 v57, 0x3f167918, v10
	v_fmac_f32_e32 v41, -0.5, v33
	v_lshlrev_b32_sdwa v33, v35, v42 dst_sel:DWORD dst_unused:UNUSED_PAD src0_sel:DWORD src1_sel:BYTE_0
	v_add_f32_e32 v10, v19, v57
	v_sub_f32_e32 v19, v19, v57
	v_lshlrev_b32_sdwa v57, v35, v42 dst_sel:DWORD dst_unused:UNUSED_PAD src0_sel:DWORD src1_sel:BYTE_1
	global_load_dwordx2 v[64:65], v33, s[4:5]
	global_load_dwordx2 v[66:67], v57, s[4:5] offset:2048
	v_bfe_u32 v42, v42, 16, 8
	v_mov_b32_e32 v33, 0x1000
	v_lshl_or_b32 v42, v42, 3, v33
	global_load_dwordx2 v[68:69], v42, s[4:5]
	v_sub_f32_e32 v42, v52, v49
	v_sub_f32_e32 v49, v53, v54
	v_add_f32_e32 v49, v42, v49
	v_or_b32_e32 v42, 16, v47
	v_mul_lo_u32 v52, v39, v42
	v_mov_b32_e32 v59, v41
	v_fmac_f32_e32 v59, 0xbf737871, v56
	v_fmac_f32_e32 v41, 0x3f737871, v56
	v_lshlrev_b32_sdwa v53, v35, v52 dst_sel:DWORD dst_unused:UNUSED_PAD src0_sel:DWORD src1_sel:BYTE_0
	global_load_dwordx2 v[70:71], v53, s[4:5]
	v_lshlrev_b32_sdwa v53, v35, v52 dst_sel:DWORD dst_unused:UNUSED_PAD src0_sel:DWORD src1_sel:BYTE_1
	global_load_dwordx2 v[72:73], v53, s[4:5] offset:2048
	v_bfe_u32 v52, v52, 16, 8
	v_lshl_or_b32 v52, v52, 3, v33
	global_load_dwordx2 v[74:75], v52, s[4:5]
	v_fmac_f32_e32 v59, 0x3f167918, v55
	v_fmac_f32_e32 v41, 0xbf167918, v55
	;; [unrolled: 1-line block ×4, first 2 shown]
	v_add_f32_e32 v49, v7, v31
	v_add_f32_e32 v49, v49, v32
	;; [unrolled: 1-line block ×5, first 2 shown]
	v_fma_f32 v55, -0.5, v49, v7
	v_sub_f32_e32 v49, v1, v43
	v_mov_b32_e32 v56, v55
	v_fmac_f32_e32 v56, 0xbf737871, v49
	v_sub_f32_e32 v52, v2, v3
	v_sub_f32_e32 v53, v31, v32
	;; [unrolled: 1-line block ×3, first 2 shown]
	v_fmac_f32_e32 v55, 0x3f737871, v49
	v_fmac_f32_e32 v56, 0xbf167918, v52
	v_add_f32_e32 v53, v53, v57
	v_fmac_f32_e32 v55, 0x3f167918, v52
	v_fmac_f32_e32 v56, 0x3e9e377a, v53
	;; [unrolled: 1-line block ×3, first 2 shown]
	v_add_f32_e32 v53, v31, v36
	v_fmac_f32_e32 v7, -0.5, v53
	v_mov_b32_e32 v58, v7
	v_fmac_f32_e32 v58, 0x3f737871, v52
	v_fmac_f32_e32 v7, 0xbf737871, v52
	v_fmac_f32_e32 v58, 0xbf167918, v49
	v_fmac_f32_e32 v7, 0x3f167918, v49
	v_add_f32_e32 v49, v29, v1
	v_add_f32_e32 v49, v49, v2
	v_sub_f32_e32 v53, v32, v31
	v_sub_f32_e32 v57, v34, v36
	v_add_f32_e32 v49, v49, v3
	v_add_f32_e32 v53, v53, v57
	v_add_f32_e32 v57, v49, v43
	v_add_f32_e32 v49, v2, v3
	v_sub_f32_e32 v61, v31, v36
	v_add_f32_e32 v31, v1, v43
	v_fma_f32 v60, -0.5, v49, v29
	v_sub_f32_e32 v63, v32, v34
	v_fmac_f32_e32 v29, -0.5, v31
	v_sub_f32_e32 v76, v1, v2
	v_mov_b32_e32 v36, v29
	v_sub_f32_e32 v1, v2, v1
	v_sub_f32_e32 v2, v3, v43
	v_fmac_f32_e32 v29, 0x3f737871, v63
	v_add_f32_e32 v62, v1, v2
	v_fmac_f32_e32 v29, 0xbf167918, v61
	v_fmac_f32_e32 v29, 0x3e9e377a, v62
	;; [unrolled: 1-line block ×3, first 2 shown]
	v_mul_f32_e32 v1, 0xbf737871, v29
	v_fmac_f32_e32 v1, 0xbe9e377a, v7
	v_mul_f32_e32 v2, 0xbe9e377a, v29
	v_sub_f32_e32 v77, v43, v3
	v_add_f32_e32 v31, v40, v1
	v_fmac_f32_e32 v2, 0x3f737871, v7
	v_sub_f32_e32 v34, v40, v1
	v_or_b32_e32 v43, 32, v47
	v_fmac_f32_e32 v58, 0x3e9e377a, v53
	s_waitcnt vmcnt(4)
	v_mul_f32_e32 v1, v65, v67
	v_add_f32_e32 v32, v41, v2
	v_sub_f32_e32 v53, v41, v2
	v_fma_f32 v1, v64, v66, -v1
	v_mul_f32_e32 v2, v64, v67
	v_mul_lo_u32 v29, v39, v43
	v_fmac_f32_e32 v2, v65, v66
	s_waitcnt vmcnt(3)
	v_mul_f32_e32 v7, v1, v69
	v_mul_f32_e32 v3, v2, v69
	v_fmac_f32_e32 v7, v68, v2
	v_fma_f32 v3, v68, v1, -v3
	v_mul_f32_e32 v1, v51, v7
	v_mul_f32_e32 v2, v50, v7
	v_fmac_f32_e32 v1, v50, v3
	v_fma_f32 v2, v51, v3, -v2
	v_lshlrev_b32_sdwa v3, v35, v29 dst_sel:DWORD dst_unused:UNUSED_PAD src0_sel:DWORD src1_sel:BYTE_0
	v_lshlrev_b32_sdwa v7, v35, v29 dst_sel:DWORD dst_unused:UNUSED_PAD src0_sel:DWORD src1_sel:BYTE_1
	global_load_dwordx2 v[40:41], v3, s[4:5]
	global_load_dwordx2 v[51:52], v7, s[4:5] offset:2048
	v_bfe_u32 v7, v29, 16, 8
	v_lshl_or_b32 v7, v7, 3, v33
	v_or_b32_e32 v49, 48, v47
	global_load_dwordx2 v[64:65], v7, s[4:5]
	v_mul_lo_u32 v7, v39, v49
	s_waitcnt vmcnt(4)
	v_mul_f32_e32 v3, v71, v73
	v_mul_f32_e32 v29, v70, v73
	v_fma_f32 v3, v70, v72, -v3
	v_fmac_f32_e32 v29, v71, v72
	v_lshlrev_b32_sdwa v70, v35, v7 dst_sel:DWORD dst_unused:UNUSED_PAD src0_sel:DWORD src1_sel:BYTE_0
	v_lshlrev_b32_sdwa v71, v35, v7 dst_sel:DWORD dst_unused:UNUSED_PAD src0_sel:DWORD src1_sel:BYTE_1
	v_bfe_u32 v7, v7, 16, 8
	s_waitcnt vmcnt(3)
	v_mul_f32_e32 v50, v29, v75
	global_load_dwordx2 v[66:67], v70, s[4:5]
	global_load_dwordx2 v[68:69], v71, s[4:5] offset:2048
	v_lshl_or_b32 v7, v7, 3, v33
	v_fma_f32 v78, v74, v3, -v50
	global_load_dwordx2 v[70:71], v7, s[4:5]
	v_mul_f32_e32 v7, v3, v75
	v_or_b32_e32 v50, 64, v47
	v_fmac_f32_e32 v7, v74, v29
	v_mul_lo_u32 v29, v39, v50
	v_mul_f32_e32 v3, v4, v7
	v_mul_f32_e32 v7, v8, v7
	v_fma_f32 v4, v4, v78, -v7
	v_lshlrev_b32_sdwa v7, v35, v29 dst_sel:DWORD dst_unused:UNUSED_PAD src0_sel:DWORD src1_sel:BYTE_0
	v_lshlrev_b32_sdwa v79, v35, v29 dst_sel:DWORD dst_unused:UNUSED_PAD src0_sel:DWORD src1_sel:BYTE_1
	global_load_dwordx2 v[72:73], v7, s[4:5]
	global_load_dwordx2 v[74:75], v79, s[4:5] offset:2048
	v_mov_b32_e32 v79, v60
	v_fmac_f32_e32 v79, 0x3f737871, v61
	v_fmac_f32_e32 v60, 0xbf737871, v61
	v_add_f32_e32 v7, v76, v77
	v_fmac_f32_e32 v79, 0x3f167918, v63
	v_fmac_f32_e32 v60, 0xbf167918, v63
	v_fmac_f32_e32 v79, 0x3e9e377a, v7
	v_fmac_f32_e32 v60, 0x3e9e377a, v7
	v_bfe_u32 v7, v29, 16, 8
	v_lshl_or_b32 v7, v7, 3, v33
	global_load_dwordx2 v[76:77], v7, s[4:5]
	v_fmac_f32_e32 v3, v8, v78
	v_fmac_f32_e32 v36, 0xbf737871, v63
	;; [unrolled: 1-line block ×4, first 2 shown]
	v_mul_f32_e32 v61, 0x3f4f1bbd, v79
	v_mul_f32_e32 v62, 0xbf737871, v36
	;; [unrolled: 1-line block ×3, first 2 shown]
	v_fmac_f32_e32 v61, 0x3f167918, v56
	v_fmac_f32_e32 v62, 0x3e9e377a, v58
	v_fmac_f32_e32 v63, 0x3f737871, v58
	v_sub_f32_e32 v58, v24, v54
	v_add_f32_e32 v86, v28, v61
	v_add_f32_e32 v84, v26, v62
	v_sub_f32_e32 v36, v26, v62
	v_add_f32_e32 v87, v59, v63
	v_sub_f32_e32 v59, v59, v63
	v_mul_lo_u32 v42, s12, v42
	s_waitcnt vmcnt(7)
	v_mul_f32_e32 v7, v41, v52
	v_fma_f32 v7, v40, v51, -v7
	v_mul_f32_e32 v8, v40, v52
	v_fmac_f32_e32 v8, v41, v51
	s_waitcnt vmcnt(6)
	v_mul_f32_e32 v40, v7, v65
	v_mul_f32_e32 v29, v8, v65
	v_fmac_f32_e32 v40, v64, v8
	v_fma_f32 v29, v64, v7, -v29
	v_mul_f32_e32 v7, v30, v40
	v_fmac_f32_e32 v7, v5, v29
	v_mul_f32_e32 v5, v5, v40
	v_fma_f32 v8, v30, v29, -v5
	v_mul_lo_u32 v41, v39, v48
	s_waitcnt vmcnt(4)
	v_mul_f32_e32 v5, v67, v69
	v_fma_f32 v5, v66, v68, -v5
	v_mul_f32_e32 v29, v66, v69
	v_fmac_f32_e32 v29, v67, v68
	s_waitcnt vmcnt(3)
	v_mul_f32_e32 v40, v5, v71
	v_mul_f32_e32 v30, v29, v71
	v_fmac_f32_e32 v40, v70, v29
	v_fma_f32 v30, v70, v5, -v30
	v_mul_f32_e32 v5, v9, v40
	v_fmac_f32_e32 v5, v6, v30
	v_mul_f32_e32 v6, v6, v40
	v_fma_f32 v6, v9, v30, -v6
	v_lshlrev_b32_sdwa v9, v35, v41 dst_sel:DWORD dst_unused:UNUSED_PAD src0_sel:DWORD src1_sel:BYTE_0
	v_lshlrev_b32_sdwa v40, v35, v41 dst_sel:DWORD dst_unused:UNUSED_PAD src0_sel:DWORD src1_sel:BYTE_1
	global_load_dwordx2 v[29:30], v9, s[4:5]
	v_bfe_u32 v48, v41, 16, 8
	global_load_dwordx2 v[40:41], v40, s[4:5] offset:2048
	v_lshl_or_b32 v52, v48, 3, v33
	global_load_dwordx2 v[64:65], v52, s[4:5]
	v_or_b32_e32 v48, 0x60, v47
	v_mul_lo_u32 v70, v39, v48
	s_waitcnt vmcnt(4)
	v_mul_f32_e32 v51, v72, v75
	v_mul_f32_e32 v9, v73, v75
	v_fmac_f32_e32 v51, v73, v74
	v_fma_f32 v9, v72, v74, -v9
	s_waitcnt vmcnt(3)
	v_mul_f32_e32 v52, v51, v77
	v_fma_f32 v52, v76, v9, -v52
	v_mul_f32_e32 v72, v9, v77
	v_lshlrev_b32_sdwa v9, v35, v70 dst_sel:DWORD dst_unused:UNUSED_PAD src0_sel:DWORD src1_sel:BYTE_0
	v_lshlrev_b32_sdwa v71, v35, v70 dst_sel:DWORD dst_unused:UNUSED_PAD src0_sel:DWORD src1_sel:BYTE_1
	global_load_dwordx2 v[66:67], v9, s[4:5]
	global_load_dwordx2 v[68:69], v71, s[4:5] offset:2048
	v_fmac_f32_e32 v72, v76, v51
	v_bfe_u32 v51, v70, 16, 8
	v_lshl_or_b32 v70, v51, 3, v33
	v_or_b32_e32 v51, 0x70, v47
	v_mul_lo_u32 v76, v39, v51
	global_load_dwordx2 v[70:71], v70, s[4:5]
	v_mul_f32_e32 v9, v10, v72
	v_mul_f32_e32 v72, v11, v72
	v_lshlrev_b32_sdwa v77, v35, v76 dst_sel:DWORD dst_unused:UNUSED_PAD src0_sel:DWORD src1_sel:BYTE_0
	v_fma_f32 v10, v10, v52, -v72
	v_lshlrev_b32_sdwa v78, v35, v76 dst_sel:DWORD dst_unused:UNUSED_PAD src0_sel:DWORD src1_sel:BYTE_1
	global_load_dwordx2 v[72:73], v77, s[4:5]
	global_load_dwordx2 v[74:75], v78, s[4:5] offset:2048
	v_fmac_f32_e32 v9, v11, v52
	s_waitcnt vmcnt(6)
	v_mul_f32_e32 v11, v30, v41
	v_fma_f32 v11, v29, v40, -v11
	v_mul_f32_e32 v29, v29, v41
	v_fmac_f32_e32 v29, v30, v40
	s_waitcnt vmcnt(5)
	v_mul_f32_e32 v30, v29, v65
	v_fma_f32 v41, v64, v11, -v30
	v_mul_f32_e32 v30, v11, v65
	v_fmac_f32_e32 v30, v64, v29
	v_mul_f32_e32 v29, v15, v30
	v_mul_f32_e32 v11, v12, v30
	v_fma_f32 v12, v12, v41, -v29
	v_fmac_f32_e32 v11, v15, v41
	s_waitcnt vmcnt(3)
	v_mul_f32_e32 v29, v67, v69
	v_mul_f32_e32 v64, v66, v69
	v_fma_f32 v40, v66, v68, -v29
	v_fmac_f32_e32 v64, v67, v68
	v_bfe_u32 v29, v76, 16, 8
	v_lshl_or_b32 v29, v29, 3, v33
	s_waitcnt vmcnt(2)
	v_mul_f32_e32 v52, v64, v71
	global_load_dwordx2 v[29:30], v29, s[4:5]
	v_fma_f32 v76, v70, v40, -v52
	v_or_b32_e32 v52, 0x80, v47
	v_or_b32_e32 v47, 0x90, v47
	v_mul_lo_u32 v77, v39, v52
	v_mul_lo_u32 v80, v39, v47
	v_mul_f32_e32 v78, v40, v71
	s_waitcnt vmcnt(1)
	v_mul_f32_e32 v40, v73, v75
	v_lshlrev_b32_sdwa v68, v35, v77 dst_sel:DWORD dst_unused:UNUSED_PAD src0_sel:DWORD src1_sel:BYTE_0
	v_lshlrev_b32_sdwa v69, v35, v77 dst_sel:DWORD dst_unused:UNUSED_PAD src0_sel:DWORD src1_sel:BYTE_1
	v_fma_f32 v81, v72, v74, -v40
	v_lshlrev_b32_sdwa v40, v35, v80 dst_sel:DWORD dst_unused:UNUSED_PAD src0_sel:DWORD src1_sel:BYTE_0
	v_fmac_f32_e32 v78, v70, v64
	global_load_dwordx2 v[64:65], v68, s[4:5]
	global_load_dwordx2 v[66:67], v69, s[4:5] offset:2048
	v_mul_f32_e32 v82, v72, v75
	global_load_dwordx2 v[68:69], v40, s[4:5]
	v_lshlrev_b32_sdwa v40, v35, v80 dst_sel:DWORD dst_unused:UNUSED_PAD src0_sel:DWORD src1_sel:BYTE_1
	global_load_dwordx2 v[70:71], v40, s[4:5] offset:2048
	v_bfe_u32 v40, v77, 16, 8
	v_lshl_or_b32 v40, v40, 3, v33
	v_fmac_f32_e32 v82, v73, v74
	global_load_dwordx2 v[72:73], v40, s[4:5]
	v_bfe_u32 v40, v80, 16, 8
	v_lshl_or_b32 v40, v40, 3, v33
	global_load_dwordx2 v[74:75], v40, s[4:5]
	v_mul_f32_e32 v40, 0xbf167918, v79
	v_mul_f32_e32 v77, 0xbf167918, v60
	v_fmac_f32_e32 v40, 0x3f4f1bbd, v56
	v_fmac_f32_e32 v77, 0xbf4f1bbd, v55
	v_add_f32_e32 v80, v24, v54
	v_add_f32_e32 v83, v25, v40
	v_sub_f32_e32 v56, v25, v40
	v_add_f32_e32 v85, v23, v77
	v_sub_f32_e32 v54, v23, v77
	;; [unrolled: 2-line block ×3, first 2 shown]
	v_mul_f32_e32 v15, v16, v78
	v_mul_lo_u32 v27, v39, v38
	v_fmac_f32_e32 v15, v13, v76
	v_mul_f32_e32 v13, v13, v78
	v_fma_f32 v16, v16, v76, -v13
	v_mul_f32_e32 v79, 0xbf4f1bbd, v60
	v_fmac_f32_e32 v79, 0x3f167918, v55
	v_sub_f32_e32 v57, v28, v61
	v_lshlrev_b32_sdwa v28, v35, v27 dst_sel:DWORD dst_unused:UNUSED_PAD src0_sel:DWORD src1_sel:BYTE_0
	v_add_f32_e32 v41, v17, v79
	s_waitcnt vmcnt(6)
	v_mul_f32_e32 v24, v81, v30
	v_mul_f32_e32 v13, v82, v30
	v_fmac_f32_e32 v24, v29, v82
	v_fma_f32 v23, v29, v81, -v13
	v_mul_f32_e32 v13, v22, v24
	v_or_b32_e32 v30, 16, v38
	v_fmac_f32_e32 v13, v14, v23
	v_mul_f32_e32 v14, v14, v24
	v_mul_lo_u32 v55, v39, v30
	v_fma_f32 v14, v22, v23, -v14
	v_lshlrev_b32_sdwa v29, v35, v27 dst_sel:DWORD dst_unused:UNUSED_PAD src0_sel:DWORD src1_sel:BYTE_1
	global_load_dwordx2 v[23:24], v28, s[4:5]
	global_load_dwordx2 v[25:26], v29, s[4:5] offset:2048
	v_bfe_u32 v27, v27, 16, 8
	v_lshl_or_b32 v27, v27, 3, v33
	s_waitcnt vmcnt(6)
	v_mul_f32_e32 v22, v65, v67
	global_load_dwordx2 v[27:28], v27, s[4:5]
	v_fma_f32 v22, v64, v66, -v22
	v_mul_f32_e32 v64, v64, v67
	s_waitcnt vmcnt(5)
	v_mul_f32_e32 v29, v69, v71
	v_lshlrev_b32_sdwa v62, v35, v55 dst_sel:DWORD dst_unused:UNUSED_PAD src0_sel:DWORD src1_sel:BYTE_0
	v_fmac_f32_e32 v64, v65, v66
	v_fma_f32 v65, v68, v70, -v29
	v_lshlrev_b32_sdwa v67, v35, v55 dst_sel:DWORD dst_unused:UNUSED_PAD src0_sel:DWORD src1_sel:BYTE_1
	global_load_dwordx2 v[29:30], v62, s[4:5]
	global_load_dwordx2 v[60:61], v67, s[4:5] offset:2048
	v_bfe_u32 v55, v55, 16, 8
	v_lshl_or_b32 v55, v55, 3, v33
	global_load_dwordx2 v[62:63], v55, s[4:5]
	v_sub_f32_e32 v55, v17, v79
	s_waitcnt vmcnt(7)
	v_mul_f32_e32 v17, v64, v73
	v_mul_f32_e32 v66, v68, v71
	v_fma_f32 v68, v72, v22, -v17
	v_mul_f32_e32 v22, v22, v73
	v_fmac_f32_e32 v22, v72, v64
	v_or_b32_e32 v64, 32, v38
	v_fmac_f32_e32 v66, v69, v70
	v_mul_lo_u32 v69, v39, v64
	v_mul_f32_e32 v17, v18, v22
	v_mul_f32_e32 v22, v21, v22
	v_fma_f32 v18, v18, v68, -v22
	s_waitcnt vmcnt(6)
	v_mul_f32_e32 v22, v66, v75
	v_mul_f32_e32 v70, v65, v75
	v_lshlrev_b32_sdwa v71, v35, v69 dst_sel:DWORD dst_unused:UNUSED_PAD src0_sel:DWORD src1_sel:BYTE_0
	v_fma_f32 v22, v74, v65, -v22
	v_fmac_f32_e32 v70, v74, v66
	v_lshlrev_b32_sdwa v72, v35, v69 dst_sel:DWORD dst_unused:UNUSED_PAD src0_sel:DWORD src1_sel:BYTE_1
	global_load_dwordx2 v[64:65], v71, s[4:5]
	global_load_dwordx2 v[66:67], v72, s[4:5] offset:2048
	v_fmac_f32_e32 v17, v21, v68
	v_bfe_u32 v68, v69, 16, 8
	v_lshl_or_b32 v68, v68, 3, v33
	global_load_dwordx2 v[68:69], v68, s[4:5]
	v_mul_f32_e32 v21, v19, v70
	v_fmac_f32_e32 v21, v20, v22
	v_mul_f32_e32 v20, v20, v70
	v_fma_f32 v22, v19, v22, -v20
	s_waitcnt vmcnt(7)
	v_mul_f32_e32 v19, v24, v26
	v_fma_f32 v19, v23, v25, -v19
	v_mul_f32_e32 v20, v23, v26
	v_fmac_f32_e32 v20, v24, v25
	s_waitcnt vmcnt(6)
	v_mul_f32_e32 v24, v19, v28
	v_mul_f32_e32 v23, v20, v28
	v_fmac_f32_e32 v24, v27, v20
	v_fma_f32 v23, v27, v19, -v23
	v_mul_f32_e32 v19, v77, v24
	v_mul_f32_e32 v20, v80, v24
	v_fmac_f32_e32 v19, v80, v23
	v_fma_f32 v20, v77, v23, -v20
	s_waitcnt vmcnt(4)
	v_mul_f32_e32 v24, v29, v61
	v_mul_f32_e32 v23, v30, v61
	v_fmac_f32_e32 v24, v30, v60
	v_fma_f32 v23, v29, v60, -v23
	s_waitcnt vmcnt(3)
	v_mul_f32_e32 v25, v24, v63
	v_fma_f32 v27, v62, v23, -v25
	v_mul_f32_e32 v25, v23, v63
	v_or_b32_e32 v23, 48, v38
	v_mul_lo_u32 v28, v39, v23
	v_fmac_f32_e32 v25, v62, v24
	v_mul_f32_e32 v23, v86, v25
	v_mul_f32_e32 v24, v83, v25
	v_lshlrev_b32_sdwa v25, v35, v28 dst_sel:DWORD dst_unused:UNUSED_PAD src0_sel:DWORD src1_sel:BYTE_0
	v_lshlrev_b32_sdwa v29, v35, v28 dst_sel:DWORD dst_unused:UNUSED_PAD src0_sel:DWORD src1_sel:BYTE_1
	global_load_dwordx2 v[29:30], v29, s[4:5] offset:2048
	v_bfe_u32 v28, v28, 16, 8
	v_lshl_or_b32 v28, v28, 3, v33
	global_load_dwordx2 v[60:61], v28, s[4:5]
	v_or_b32_e32 v62, 64, v38
	global_load_dwordx2 v[25:26], v25, s[4:5]
	v_mul_lo_u32 v28, v39, v62
	v_fma_f32 v24, v86, v27, -v24
	s_waitcnt vmcnt(4)
	v_mul_f32_e32 v62, v65, v67
	v_fma_f32 v72, v64, v66, -v62
	v_mul_f32_e32 v67, v64, v67
	v_lshlrev_b32_sdwa v64, v35, v28 dst_sel:DWORD dst_unused:UNUSED_PAD src0_sel:DWORD src1_sel:BYTE_0
	v_lshlrev_b32_sdwa v73, v35, v28 dst_sel:DWORD dst_unused:UNUSED_PAD src0_sel:DWORD src1_sel:BYTE_1
	global_load_dwordx2 v[62:63], v64, s[4:5]
	global_load_dwordx2 v[70:71], v73, s[4:5] offset:2048
	v_bfe_u32 v28, v28, 16, 8
	v_lshl_or_b32 v28, v28, 3, v33
	v_fmac_f32_e32 v67, v65, v66
	global_load_dwordx2 v[64:65], v28, s[4:5]
	v_or_b32_e32 v66, 0x50, v38
	v_mul_lo_u32 v73, v39, v66
	s_waitcnt vmcnt(6)
	v_mul_f32_e32 v28, v67, v69
	v_fma_f32 v28, v68, v72, -v28
	v_mul_f32_e32 v72, v72, v69
	v_lshlrev_b32_sdwa v74, v35, v73 dst_sel:DWORD dst_unused:UNUSED_PAD src0_sel:DWORD src1_sel:BYTE_0
	v_fmac_f32_e32 v72, v68, v67
	v_lshlrev_b32_sdwa v75, v35, v73 dst_sel:DWORD dst_unused:UNUSED_PAD src0_sel:DWORD src1_sel:BYTE_1
	global_load_dwordx2 v[66:67], v74, s[4:5]
	global_load_dwordx2 v[68:69], v75, s[4:5] offset:2048
	v_fmac_f32_e32 v23, v83, v27
	v_mul_f32_e32 v27, v87, v72
	v_mul_f32_e32 v74, v84, v72
	v_bfe_u32 v72, v73, 16, 8
	v_lshl_or_b32 v72, v72, 3, v33
	global_load_dwordx2 v[72:73], v72, s[4:5]
	v_fmac_f32_e32 v27, v84, v28
	v_fma_f32 v28, v87, v28, -v74
	v_or_b32_e32 v75, 0x80, v38
	s_waitcnt vmcnt(6)
	v_mul_f32_e32 v74, v26, v30
	v_fma_f32 v74, v25, v29, -v74
	v_mul_f32_e32 v25, v25, v30
	v_fmac_f32_e32 v25, v26, v29
	v_mul_f32_e32 v30, v74, v61
	v_mul_f32_e32 v26, v25, v61
	v_fmac_f32_e32 v30, v60, v25
	v_fma_f32 v26, v60, v74, -v26
	v_mul_f32_e32 v25, v31, v30
	v_mul_f32_e32 v29, v32, v30
	v_fma_f32 v30, v32, v26, -v25
	s_waitcnt vmcnt(4)
	v_mul_f32_e32 v25, v63, v71
	v_fmac_f32_e32 v29, v31, v26
	v_fma_f32 v25, v62, v70, -v25
	v_mul_f32_e32 v26, v62, v71
	v_fmac_f32_e32 v26, v63, v70
	s_waitcnt vmcnt(3)
	v_mul_f32_e32 v32, v25, v65
	v_mul_f32_e32 v31, v26, v65
	v_fmac_f32_e32 v32, v64, v26
	v_fma_f32 v31, v64, v25, -v31
	v_mul_f32_e32 v25, v41, v32
	v_mul_f32_e32 v26, v85, v32
	v_or_b32_e32 v32, 0x60, v38
	v_mul_lo_u32 v32, v39, v32
	v_fma_f32 v26, v41, v31, -v26
	v_fmac_f32_e32 v25, v85, v31
	s_waitcnt vmcnt(1)
	v_mul_f32_e32 v31, v67, v69
	v_lshlrev_b32_sdwa v41, v35, v32 dst_sel:DWORD dst_unused:UNUSED_PAD src0_sel:DWORD src1_sel:BYTE_0
	v_lshlrev_b32_sdwa v64, v35, v32 dst_sel:DWORD dst_unused:UNUSED_PAD src0_sel:DWORD src1_sel:BYTE_1
	v_bfe_u32 v32, v32, 16, 8
	global_load_dwordx2 v[60:61], v41, s[4:5]
	global_load_dwordx2 v[62:63], v64, s[4:5] offset:2048
	v_lshl_or_b32 v32, v32, 3, v33
	v_or_b32_e32 v41, 0x70, v38
	global_load_dwordx2 v[64:65], v32, s[4:5]
	v_mul_lo_u32 v32, v39, v41
	v_mul_f32_e32 v41, v66, v69
	v_fma_f32 v31, v66, v68, -v31
	v_fmac_f32_e32 v41, v67, v68
	v_lshlrev_b32_sdwa v66, v35, v32 dst_sel:DWORD dst_unused:UNUSED_PAD src0_sel:DWORD src1_sel:BYTE_0
	v_lshlrev_b32_sdwa v68, v35, v32 dst_sel:DWORD dst_unused:UNUSED_PAD src0_sel:DWORD src1_sel:BYTE_1
	v_bfe_u32 v32, v32, 16, 8
	global_load_dwordx2 v[66:67], v66, s[4:5]
	v_lshl_or_b32 v32, v32, 3, v33
	global_load_dwordx2 v[68:69], v68, s[4:5] offset:2048
	s_waitcnt vmcnt(5)
	v_mul_f32_e32 v74, v41, v73
	global_load_dwordx2 v[70:71], v32, s[4:5]
	v_mul_lo_u32 v32, v39, v75
	v_fma_f32 v82, v72, v31, -v74
	v_mul_f32_e32 v78, v31, v73
	v_fmac_f32_e32 v78, v72, v41
	v_lshlrev_b32_sdwa v31, v35, v32 dst_sel:DWORD dst_unused:UNUSED_PAD src0_sel:DWORD src1_sel:BYTE_0
	v_lshlrev_b32_sdwa v41, v35, v32 dst_sel:DWORD dst_unused:UNUSED_PAD src0_sel:DWORD src1_sel:BYTE_1
	global_load_dwordx2 v[72:73], v31, s[4:5]
	global_load_dwordx2 v[74:75], v41, s[4:5] offset:2048
	v_bfe_u32 v31, v32, 16, 8
	v_or_b32_e32 v32, 0x90, v38
	v_lshl_or_b32 v31, v31, 3, v33
	v_mul_lo_u32 v38, v39, v32
	global_load_dwordx2 v[76:77], v31, s[4:5]
	v_mul_f32_e32 v31, v40, v78
	v_mul_f32_e32 v32, v58, v78
	v_lshlrev_b32_sdwa v39, v35, v38 dst_sel:DWORD dst_unused:UNUSED_PAD src0_sel:DWORD src1_sel:BYTE_0
	v_lshlrev_b32_sdwa v35, v35, v38 dst_sel:DWORD dst_unused:UNUSED_PAD src0_sel:DWORD src1_sel:BYTE_1
	global_load_dwordx2 v[78:79], v39, s[4:5]
	global_load_dwordx2 v[80:81], v35, s[4:5] offset:2048
	v_bfe_u32 v35, v38, 16, 8
	v_lshl_or_b32 v33, v35, 3, v33
	v_fma_f32 v32, v40, v82, -v32
	global_load_dwordx2 v[40:41], v33, s[4:5]
	s_movk_i32 s4, 0x90
	buffer_store_dwordx2 v[1:2], v46, s[8:11], s13 offen
	v_mul_lo_u32 v1, s12, v43
	v_add_lshl_u32 v2, v37, v42, 3
	v_cndmask_b32_e64 v2, -1, v2, s[2:3]
	buffer_store_dwordx2 v[3:4], v2, s[8:11], s13 offen
	v_add_lshl_u32 v1, v37, v1, 3
	v_cndmask_b32_e64 v1, -1, v1, s[2:3]
	v_mul_lo_u32 v2, s12, v49
	buffer_store_dwordx2 v[7:8], v1, s[8:11], s13 offen
	v_mul_lo_u32 v1, s12, v50
	v_cndmask_b32_e64 v3, 0, 1, s[0:1]
	v_add_lshl_u32 v2, v37, v2, 3
	v_cndmask_b32_e64 v2, -1, v2, s[2:3]
	v_add_lshl_u32 v1, v37, v1, 3
	v_cndmask_b32_e64 v1, -1, v1, s[2:3]
	buffer_store_dwordx2 v[5:6], v2, s[8:11], s13 offen
	buffer_store_dwordx2 v[9:10], v1, s[8:11], s13 offen
	v_add_lshl_u32 v1, v37, v45, 3
	v_cndmask_b32_e64 v1, -1, v1, s[2:3]
	v_mul_lo_u32 v2, s12, v48
	buffer_store_dwordx2 v[11:12], v1, s[8:11], s13 offen
	v_mul_lo_u32 v1, s12, v51
	v_fmac_f32_e32 v31, v58, v82
	v_add_lshl_u32 v2, v37, v2, 3
	v_cndmask_b32_e64 v2, -1, v2, s[2:3]
	v_add_lshl_u32 v1, v37, v1, 3
	v_cndmask_b32_e64 v1, -1, v1, s[2:3]
	buffer_store_dwordx2 v[15:16], v2, s[8:11], s13 offen
	v_mul_lo_u32 v2, s12, v52
	buffer_store_dwordx2 v[13:14], v1, s[8:11], s13 offen
	v_mul_lo_u32 v1, s12, v47
	v_add_lshl_u32 v2, v37, v2, 3
	v_cndmask_b32_e64 v2, -1, v2, s[2:3]
	v_add_lshl_u32 v1, v37, v1, 3
	v_cndmask_b32_e64 v1, -1, v1, s[2:3]
	buffer_store_dwordx2 v[17:18], v2, s[8:11], s13 offen
	buffer_store_dwordx2 v[21:22], v1, s[8:11], s13 offen
	v_lshrrev_b32_e32 v1, 4, v44
	s_movk_i32 s2, 0x77
	v_mad_u32_u24 v1, v1, s4, v44
	v_cmp_lt_u32_e64 s[2:3], s2, v0
	v_cmp_gt_u32_e64 s[4:5], s18, v0
	v_mul_lo_u32 v2, s12, v1
	v_cndmask_b32_e64 v0, 0, 1, s[4:5]
	s_or_b64 vcc, s[2:3], vcc
	v_cndmask_b32_e32 v0, v3, v0, vcc
	v_add_u32_e32 v3, 16, v1
	v_mul_lo_u32 v3, s12, v3
	v_and_b32_e32 v0, 1, v0
	v_add_lshl_u32 v2, v37, v2, 3
	v_cmp_eq_u32_e32 vcc, 1, v0
	v_cndmask_b32_e32 v0, -1, v2, vcc
	buffer_store_dwordx2 v[19:20], v0, s[8:11], s13 offen
	v_add_lshl_u32 v0, v37, v3, 3
	v_cndmask_b32_e32 v0, -1, v0, vcc
	v_add_u32_e32 v2, 32, v1
	buffer_store_dwordx2 v[23:24], v0, s[8:11], s13 offen
	v_add_u32_e32 v0, 48, v1
	v_mul_lo_u32 v2, s12, v2
	v_mul_lo_u32 v0, s12, v0
	s_waitcnt vmcnt(22)
	v_mul_f32_e32 v35, v60, v63
	v_mul_f32_e32 v33, v61, v63
	v_add_lshl_u32 v2, v37, v2, 3
	v_add_lshl_u32 v0, v37, v0, 3
	v_fmac_f32_e32 v35, v61, v62
	v_cndmask_b32_e32 v2, -1, v2, vcc
	v_cndmask_b32_e32 v0, -1, v0, vcc
	v_fma_f32 v33, v60, v62, -v33
	s_waitcnt vmcnt(21)
	v_mul_f32_e32 v38, v35, v65
	buffer_store_dwordx2 v[27:28], v2, s[8:11], s13 offen
	v_add_u32_e32 v2, 64, v1
	buffer_store_dwordx2 v[29:30], v0, s[8:11], s13 offen
	v_add_u32_e32 v0, 0x50, v1
	v_fma_f32 v39, v64, v33, -v38
	v_mul_f32_e32 v33, v33, v65
	v_mul_lo_u32 v2, s12, v2
	v_mul_lo_u32 v0, s12, v0
	v_fmac_f32_e32 v33, v64, v35
	v_mul_f32_e32 v38, v57, v33
	v_mul_f32_e32 v33, v56, v33
	s_waitcnt vmcnt(21)
	v_mul_f32_e32 v35, v66, v69
	v_fmac_f32_e32 v38, v56, v39
	v_fma_f32 v39, v57, v39, -v33
	v_mul_f32_e32 v33, v67, v69
	v_fmac_f32_e32 v35, v67, v68
	v_fma_f32 v33, v66, v68, -v33
	s_waitcnt vmcnt(20)
	v_mul_f32_e32 v56, v35, v71
	v_add_lshl_u32 v2, v37, v2, 3
	v_add_lshl_u32 v0, v37, v0, 3
	v_fma_f32 v56, v70, v33, -v56
	v_mul_f32_e32 v33, v33, v71
	v_cndmask_b32_e32 v2, -1, v2, vcc
	v_cndmask_b32_e32 v0, -1, v0, vcc
	v_fmac_f32_e32 v33, v70, v35
	buffer_store_dwordx2 v[25:26], v2, s[8:11], s13 offen
	v_add_u32_e32 v2, 0x60, v1
	buffer_store_dwordx2 v[31:32], v0, s[8:11], s13 offen
	v_add_u32_e32 v0, 0x70, v1
	v_mul_f32_e32 v35, v59, v33
	v_mul_f32_e32 v33, v36, v33
	v_mul_lo_u32 v2, s12, v2
	v_mul_lo_u32 v0, s12, v0
	v_fmac_f32_e32 v35, v36, v56
	v_fma_f32 v36, v59, v56, -v33
	s_waitcnt vmcnt(20)
	v_mul_f32_e32 v33, v73, v75
	v_fma_f32 v33, v72, v74, -v33
	v_mul_f32_e32 v56, v72, v75
	v_fmac_f32_e32 v56, v73, v74
	s_waitcnt vmcnt(19)
	v_mul_f32_e32 v58, v33, v77
	v_mul_f32_e32 v57, v56, v77
	v_fmac_f32_e32 v58, v76, v56
	v_add_lshl_u32 v2, v37, v2, 3
	v_add_lshl_u32 v0, v37, v0, 3
	v_fma_f32 v57, v76, v33, -v57
	v_mul_f32_e32 v33, v53, v58
	v_cndmask_b32_e32 v2, -1, v2, vcc
	v_cndmask_b32_e32 v0, -1, v0, vcc
	v_fmac_f32_e32 v33, v34, v57
	v_mul_f32_e32 v34, v34, v58
	buffer_store_dwordx2 v[38:39], v2, s[8:11], s13 offen
	v_add_u32_e32 v2, 0x80, v1
	buffer_store_dwordx2 v[35:36], v0, s[8:11], s13 offen
	v_add_u32_e32 v0, 0x90, v1
	v_fma_f32 v34, v53, v57, -v34
	s_waitcnt vmcnt(19)
	v_mul_f32_e32 v53, v79, v81
	v_mul_f32_e32 v56, v78, v81
	v_mul_lo_u32 v2, s12, v2
	v_mul_lo_u32 v0, s12, v0
	v_fma_f32 v53, v78, v80, -v53
	v_fmac_f32_e32 v56, v79, v80
	s_waitcnt vmcnt(18)
	v_mul_f32_e32 v57, v56, v41
	v_mul_f32_e32 v41, v53, v41
	v_fmac_f32_e32 v41, v40, v56
	v_fma_f32 v57, v40, v53, -v57
	v_mul_f32_e32 v40, v55, v41
	v_mul_f32_e32 v41, v54, v41
	v_add_lshl_u32 v1, v37, v2, 3
	v_add_lshl_u32 v0, v37, v0, 3
	v_fmac_f32_e32 v40, v54, v57
	v_fma_f32 v41, v55, v57, -v41
	v_cndmask_b32_e32 v1, -1, v1, vcc
	v_cndmask_b32_e32 v0, -1, v0, vcc
	buffer_store_dwordx2 v[33:34], v1, s[8:11], s13 offen
	buffer_store_dwordx2 v[40:41], v0, s[8:11], s13 offen
	s_endpgm
	.section	.rodata,"a",@progbits
	.p2align	6, 0x0
	.amdhsa_kernel fft_rtc_back_len160_factors_2_8_10_wgs_200_tpt_10_dim3_sp_ip_CI_sbcc_twdbase8_3step_dirReg_intrinsicReadWrite
		.amdhsa_group_segment_fixed_size 0
		.amdhsa_private_segment_fixed_size 0
		.amdhsa_kernarg_size 88
		.amdhsa_user_sgpr_count 6
		.amdhsa_user_sgpr_private_segment_buffer 1
		.amdhsa_user_sgpr_dispatch_ptr 0
		.amdhsa_user_sgpr_queue_ptr 0
		.amdhsa_user_sgpr_kernarg_segment_ptr 1
		.amdhsa_user_sgpr_dispatch_id 0
		.amdhsa_user_sgpr_flat_scratch_init 0
		.amdhsa_user_sgpr_private_segment_size 0
		.amdhsa_uses_dynamic_stack 0
		.amdhsa_system_sgpr_private_segment_wavefront_offset 0
		.amdhsa_system_sgpr_workgroup_id_x 1
		.amdhsa_system_sgpr_workgroup_id_y 0
		.amdhsa_system_sgpr_workgroup_id_z 0
		.amdhsa_system_sgpr_workgroup_info 0
		.amdhsa_system_vgpr_workitem_id 0
		.amdhsa_next_free_vgpr 88
		.amdhsa_next_free_sgpr 28
		.amdhsa_reserve_vcc 1
		.amdhsa_reserve_flat_scratch 0
		.amdhsa_float_round_mode_32 0
		.amdhsa_float_round_mode_16_64 0
		.amdhsa_float_denorm_mode_32 3
		.amdhsa_float_denorm_mode_16_64 3
		.amdhsa_dx10_clamp 1
		.amdhsa_ieee_mode 1
		.amdhsa_fp16_overflow 0
		.amdhsa_exception_fp_ieee_invalid_op 0
		.amdhsa_exception_fp_denorm_src 0
		.amdhsa_exception_fp_ieee_div_zero 0
		.amdhsa_exception_fp_ieee_overflow 0
		.amdhsa_exception_fp_ieee_underflow 0
		.amdhsa_exception_fp_ieee_inexact 0
		.amdhsa_exception_int_div_zero 0
	.end_amdhsa_kernel
	.text
.Lfunc_end0:
	.size	fft_rtc_back_len160_factors_2_8_10_wgs_200_tpt_10_dim3_sp_ip_CI_sbcc_twdbase8_3step_dirReg_intrinsicReadWrite, .Lfunc_end0-fft_rtc_back_len160_factors_2_8_10_wgs_200_tpt_10_dim3_sp_ip_CI_sbcc_twdbase8_3step_dirReg_intrinsicReadWrite
                                        ; -- End function
	.section	.AMDGPU.csdata,"",@progbits
; Kernel info:
; codeLenInByte = 9212
; NumSgprs: 32
; NumVgprs: 88
; ScratchSize: 0
; MemoryBound: 0
; FloatMode: 240
; IeeeMode: 1
; LDSByteSize: 0 bytes/workgroup (compile time only)
; SGPRBlocks: 3
; VGPRBlocks: 21
; NumSGPRsForWavesPerEU: 32
; NumVGPRsForWavesPerEU: 88
; Occupancy: 2
; WaveLimiterHint : 0
; COMPUTE_PGM_RSRC2:SCRATCH_EN: 0
; COMPUTE_PGM_RSRC2:USER_SGPR: 6
; COMPUTE_PGM_RSRC2:TRAP_HANDLER: 0
; COMPUTE_PGM_RSRC2:TGID_X_EN: 1
; COMPUTE_PGM_RSRC2:TGID_Y_EN: 0
; COMPUTE_PGM_RSRC2:TGID_Z_EN: 0
; COMPUTE_PGM_RSRC2:TIDIG_COMP_CNT: 0
	.type	__hip_cuid_d18ec2e37291764d,@object ; @__hip_cuid_d18ec2e37291764d
	.section	.bss,"aw",@nobits
	.globl	__hip_cuid_d18ec2e37291764d
__hip_cuid_d18ec2e37291764d:
	.byte	0                               ; 0x0
	.size	__hip_cuid_d18ec2e37291764d, 1

	.ident	"AMD clang version 19.0.0git (https://github.com/RadeonOpenCompute/llvm-project roc-6.4.0 25133 c7fe45cf4b819c5991fe208aaa96edf142730f1d)"
	.section	".note.GNU-stack","",@progbits
	.addrsig
	.addrsig_sym __hip_cuid_d18ec2e37291764d
	.amdgpu_metadata
---
amdhsa.kernels:
  - .args:
      - .actual_access:  read_only
        .address_space:  global
        .offset:         0
        .size:           8
        .value_kind:     global_buffer
      - .address_space:  global
        .offset:         8
        .size:           8
        .value_kind:     global_buffer
      - .actual_access:  read_only
        .address_space:  global
        .offset:         16
        .size:           8
        .value_kind:     global_buffer
      - .actual_access:  read_only
        .address_space:  global
        .offset:         24
        .size:           8
        .value_kind:     global_buffer
      - .offset:         32
        .size:           8
        .value_kind:     by_value
      - .actual_access:  read_only
        .address_space:  global
        .offset:         40
        .size:           8
        .value_kind:     global_buffer
      - .actual_access:  read_only
        .address_space:  global
        .offset:         48
        .size:           8
        .value_kind:     global_buffer
      - .offset:         56
        .size:           4
        .value_kind:     by_value
      - .actual_access:  read_only
        .address_space:  global
        .offset:         64
        .size:           8
        .value_kind:     global_buffer
      - .actual_access:  read_only
        .address_space:  global
        .offset:         72
        .size:           8
        .value_kind:     global_buffer
      - .address_space:  global
        .offset:         80
        .size:           8
        .value_kind:     global_buffer
    .group_segment_fixed_size: 0
    .kernarg_segment_align: 8
    .kernarg_segment_size: 88
    .language:       OpenCL C
    .language_version:
      - 2
      - 0
    .max_flat_workgroup_size: 200
    .name:           fft_rtc_back_len160_factors_2_8_10_wgs_200_tpt_10_dim3_sp_ip_CI_sbcc_twdbase8_3step_dirReg_intrinsicReadWrite
    .private_segment_fixed_size: 0
    .sgpr_count:     32
    .sgpr_spill_count: 0
    .symbol:         fft_rtc_back_len160_factors_2_8_10_wgs_200_tpt_10_dim3_sp_ip_CI_sbcc_twdbase8_3step_dirReg_intrinsicReadWrite.kd
    .uniform_work_group_size: 1
    .uses_dynamic_stack: false
    .vgpr_count:     88
    .vgpr_spill_count: 0
    .wavefront_size: 64
amdhsa.target:   amdgcn-amd-amdhsa--gfx906
amdhsa.version:
  - 1
  - 2
...

	.end_amdgpu_metadata
